;; amdgpu-corpus repo=ROCm/rocFFT kind=compiled arch=gfx1030 opt=O3
	.text
	.amdgcn_target "amdgcn-amd-amdhsa--gfx1030"
	.amdhsa_code_object_version 6
	.protected	fft_rtc_back_len98_factors_2_7_7_wgs_252_tpt_14_sp_ip_CI_unitstride_sbrr_R2C_dirReg ; -- Begin function fft_rtc_back_len98_factors_2_7_7_wgs_252_tpt_14_sp_ip_CI_unitstride_sbrr_R2C_dirReg
	.globl	fft_rtc_back_len98_factors_2_7_7_wgs_252_tpt_14_sp_ip_CI_unitstride_sbrr_R2C_dirReg
	.p2align	8
	.type	fft_rtc_back_len98_factors_2_7_7_wgs_252_tpt_14_sp_ip_CI_unitstride_sbrr_R2C_dirReg,@function
fft_rtc_back_len98_factors_2_7_7_wgs_252_tpt_14_sp_ip_CI_unitstride_sbrr_R2C_dirReg: ; @fft_rtc_back_len98_factors_2_7_7_wgs_252_tpt_14_sp_ip_CI_unitstride_sbrr_R2C_dirReg
; %bb.0:
	s_load_dwordx4 s[8:11], s[4:5], 0x0
	v_mul_u32_u24_e32 v1, 0x124a, v0
	s_clause 0x1
	s_load_dwordx2 s[2:3], s[4:5], 0x50
	s_load_dwordx2 s[12:13], s[4:5], 0x18
	v_mov_b32_e32 v3, 0
	v_mov_b32_e32 v5, 0
	;; [unrolled: 1-line block ×3, first 2 shown]
	v_lshrrev_b32_e32 v1, 16, v1
	v_mad_u64_u32 v[1:2], null, s6, 18, v[1:2]
	v_mov_b32_e32 v2, v3
	v_mov_b32_e32 v13, v2
	;; [unrolled: 1-line block ×3, first 2 shown]
	s_waitcnt lgkmcnt(0)
	v_cmp_lt_u64_e64 s0, s[10:11], 2
	s_and_b32 vcc_lo, exec_lo, s0
	s_cbranch_vccnz .LBB0_8
; %bb.1:
	s_load_dwordx2 s[0:1], s[4:5], 0x10
	v_mov_b32_e32 v5, 0
	v_mov_b32_e32 v8, v2
	s_add_u32 s6, s12, 8
	v_mov_b32_e32 v6, 0
	v_mov_b32_e32 v7, v1
	s_addc_u32 s7, s13, 0
	s_mov_b64 s[16:17], 1
	s_waitcnt lgkmcnt(0)
	s_add_u32 s14, s0, 8
	s_addc_u32 s15, s1, 0
.LBB0_2:                                ; =>This Inner Loop Header: Depth=1
	s_load_dwordx2 s[18:19], s[14:15], 0x0
                                        ; implicit-def: $vgpr12_vgpr13
	s_mov_b32 s0, exec_lo
	s_waitcnt lgkmcnt(0)
	v_or_b32_e32 v4, s19, v8
	v_cmpx_ne_u64_e32 0, v[3:4]
	s_xor_b32 s1, exec_lo, s0
	s_cbranch_execz .LBB0_4
; %bb.3:                                ;   in Loop: Header=BB0_2 Depth=1
	v_cvt_f32_u32_e32 v2, s18
	v_cvt_f32_u32_e32 v4, s19
	s_sub_u32 s0, 0, s18
	s_subb_u32 s20, 0, s19
	v_fmac_f32_e32 v2, 0x4f800000, v4
	v_rcp_f32_e32 v2, v2
	v_mul_f32_e32 v2, 0x5f7ffffc, v2
	v_mul_f32_e32 v4, 0x2f800000, v2
	v_trunc_f32_e32 v4, v4
	v_fmac_f32_e32 v2, 0xcf800000, v4
	v_cvt_u32_f32_e32 v4, v4
	v_cvt_u32_f32_e32 v2, v2
	v_mul_lo_u32 v9, s0, v4
	v_mul_hi_u32 v10, s0, v2
	v_mul_lo_u32 v11, s20, v2
	v_add_nc_u32_e32 v9, v10, v9
	v_mul_lo_u32 v10, s0, v2
	v_add_nc_u32_e32 v9, v9, v11
	v_mul_hi_u32 v11, v2, v10
	v_mul_lo_u32 v12, v2, v9
	v_mul_hi_u32 v13, v2, v9
	v_mul_hi_u32 v14, v4, v10
	v_mul_lo_u32 v10, v4, v10
	v_mul_hi_u32 v15, v4, v9
	v_mul_lo_u32 v9, v4, v9
	v_add_co_u32 v11, vcc_lo, v11, v12
	v_add_co_ci_u32_e32 v12, vcc_lo, 0, v13, vcc_lo
	v_add_co_u32 v10, vcc_lo, v11, v10
	v_add_co_ci_u32_e32 v10, vcc_lo, v12, v14, vcc_lo
	v_add_co_ci_u32_e32 v11, vcc_lo, 0, v15, vcc_lo
	v_add_co_u32 v9, vcc_lo, v10, v9
	v_add_co_ci_u32_e32 v10, vcc_lo, 0, v11, vcc_lo
	v_add_co_u32 v2, vcc_lo, v2, v9
	v_add_co_ci_u32_e32 v4, vcc_lo, v4, v10, vcc_lo
	v_mul_hi_u32 v9, s0, v2
	v_mul_lo_u32 v11, s20, v2
	v_mul_lo_u32 v10, s0, v4
	v_add_nc_u32_e32 v9, v9, v10
	v_mul_lo_u32 v10, s0, v2
	v_add_nc_u32_e32 v9, v9, v11
	v_mul_hi_u32 v11, v2, v10
	v_mul_lo_u32 v12, v2, v9
	v_mul_hi_u32 v13, v2, v9
	v_mul_hi_u32 v14, v4, v10
	v_mul_lo_u32 v10, v4, v10
	v_mul_hi_u32 v15, v4, v9
	v_mul_lo_u32 v9, v4, v9
	v_add_co_u32 v11, vcc_lo, v11, v12
	v_add_co_ci_u32_e32 v12, vcc_lo, 0, v13, vcc_lo
	v_add_co_u32 v10, vcc_lo, v11, v10
	v_add_co_ci_u32_e32 v10, vcc_lo, v12, v14, vcc_lo
	v_add_co_ci_u32_e32 v11, vcc_lo, 0, v15, vcc_lo
	v_add_co_u32 v9, vcc_lo, v10, v9
	v_add_co_ci_u32_e32 v10, vcc_lo, 0, v11, vcc_lo
	v_add_co_u32 v2, vcc_lo, v2, v9
	v_add_co_ci_u32_e32 v4, vcc_lo, v4, v10, vcc_lo
	v_mul_hi_u32 v15, v7, v2
	v_mad_u64_u32 v[11:12], null, v8, v2, 0
	v_mad_u64_u32 v[9:10], null, v7, v4, 0
	v_mad_u64_u32 v[13:14], null, v8, v4, 0
	v_add_co_u32 v2, vcc_lo, v15, v9
	v_add_co_ci_u32_e32 v4, vcc_lo, 0, v10, vcc_lo
	v_add_co_u32 v2, vcc_lo, v2, v11
	v_add_co_ci_u32_e32 v2, vcc_lo, v4, v12, vcc_lo
	v_add_co_ci_u32_e32 v4, vcc_lo, 0, v14, vcc_lo
	v_add_co_u32 v2, vcc_lo, v2, v13
	v_add_co_ci_u32_e32 v4, vcc_lo, 0, v4, vcc_lo
	v_mul_lo_u32 v11, s19, v2
	v_mad_u64_u32 v[9:10], null, s18, v2, 0
	v_mul_lo_u32 v12, s18, v4
	v_sub_co_u32 v9, vcc_lo, v7, v9
	v_add3_u32 v10, v10, v12, v11
	v_sub_nc_u32_e32 v11, v8, v10
	v_subrev_co_ci_u32_e64 v11, s0, s19, v11, vcc_lo
	v_add_co_u32 v12, s0, v2, 2
	v_add_co_ci_u32_e64 v13, s0, 0, v4, s0
	v_sub_co_u32 v14, s0, v9, s18
	v_sub_co_ci_u32_e32 v10, vcc_lo, v8, v10, vcc_lo
	v_subrev_co_ci_u32_e64 v11, s0, 0, v11, s0
	v_cmp_le_u32_e32 vcc_lo, s18, v14
	v_cmp_eq_u32_e64 s0, s19, v10
	v_cndmask_b32_e64 v14, 0, -1, vcc_lo
	v_cmp_le_u32_e32 vcc_lo, s19, v11
	v_cndmask_b32_e64 v15, 0, -1, vcc_lo
	v_cmp_le_u32_e32 vcc_lo, s18, v9
	;; [unrolled: 2-line block ×3, first 2 shown]
	v_cndmask_b32_e64 v16, 0, -1, vcc_lo
	v_cmp_eq_u32_e32 vcc_lo, s19, v11
	v_cndmask_b32_e64 v9, v16, v9, s0
	v_cndmask_b32_e32 v11, v15, v14, vcc_lo
	v_add_co_u32 v14, vcc_lo, v2, 1
	v_add_co_ci_u32_e32 v15, vcc_lo, 0, v4, vcc_lo
	v_cmp_ne_u32_e32 vcc_lo, 0, v11
	v_cndmask_b32_e32 v10, v15, v13, vcc_lo
	v_cndmask_b32_e32 v11, v14, v12, vcc_lo
	v_cmp_ne_u32_e32 vcc_lo, 0, v9
	v_cndmask_b32_e32 v13, v4, v10, vcc_lo
	v_cndmask_b32_e32 v12, v2, v11, vcc_lo
.LBB0_4:                                ;   in Loop: Header=BB0_2 Depth=1
	s_andn2_saveexec_b32 s0, s1
	s_cbranch_execz .LBB0_6
; %bb.5:                                ;   in Loop: Header=BB0_2 Depth=1
	v_cvt_f32_u32_e32 v2, s18
	s_sub_i32 s1, 0, s18
	v_mov_b32_e32 v13, v3
	v_rcp_iflag_f32_e32 v2, v2
	v_mul_f32_e32 v2, 0x4f7ffffe, v2
	v_cvt_u32_f32_e32 v2, v2
	v_mul_lo_u32 v4, s1, v2
	v_mul_hi_u32 v4, v2, v4
	v_add_nc_u32_e32 v2, v2, v4
	v_mul_hi_u32 v2, v7, v2
	v_mul_lo_u32 v4, v2, s18
	v_add_nc_u32_e32 v9, 1, v2
	v_sub_nc_u32_e32 v4, v7, v4
	v_subrev_nc_u32_e32 v10, s18, v4
	v_cmp_le_u32_e32 vcc_lo, s18, v4
	v_cndmask_b32_e32 v4, v4, v10, vcc_lo
	v_cndmask_b32_e32 v2, v2, v9, vcc_lo
	v_cmp_le_u32_e32 vcc_lo, s18, v4
	v_add_nc_u32_e32 v9, 1, v2
	v_cndmask_b32_e32 v12, v2, v9, vcc_lo
.LBB0_6:                                ;   in Loop: Header=BB0_2 Depth=1
	s_or_b32 exec_lo, exec_lo, s0
	s_load_dwordx2 s[0:1], s[6:7], 0x0
	v_mul_lo_u32 v2, v13, s18
	v_mul_lo_u32 v4, v12, s19
	v_mad_u64_u32 v[9:10], null, v12, s18, 0
	s_add_u32 s16, s16, 1
	s_addc_u32 s17, s17, 0
	s_add_u32 s6, s6, 8
	s_addc_u32 s7, s7, 0
	;; [unrolled: 2-line block ×3, first 2 shown]
	v_add3_u32 v2, v10, v4, v2
	v_sub_co_u32 v4, vcc_lo, v7, v9
	v_sub_co_ci_u32_e32 v2, vcc_lo, v8, v2, vcc_lo
	s_waitcnt lgkmcnt(0)
	v_mul_lo_u32 v7, s1, v4
	v_mul_lo_u32 v2, s0, v2
	v_mad_u64_u32 v[5:6], null, s0, v4, v[5:6]
	v_cmp_ge_u64_e64 s0, s[16:17], s[10:11]
	s_and_b32 vcc_lo, exec_lo, s0
	v_add3_u32 v6, v7, v6, v2
	s_cbranch_vccnz .LBB0_8
; %bb.7:                                ;   in Loop: Header=BB0_2 Depth=1
	v_mov_b32_e32 v7, v12
	v_mov_b32_e32 v8, v13
	s_branch .LBB0_2
.LBB0_8:
	s_lshl_b64 s[0:1], s[10:11], 3
	v_mul_hi_u32 v2, 0x38e38e39, v1
	s_add_u32 s0, s12, s0
	s_addc_u32 s1, s13, s1
	v_mul_hi_u32 v3, 0x12492493, v0
	s_load_dwordx2 s[0:1], s[0:1], 0x0
	s_load_dwordx2 s[4:5], s[4:5], 0x20
	v_lshrrev_b32_e32 v2, 2, v2
	v_mul_u32_u24_e32 v3, 14, v3
	v_mul_lo_u32 v7, v2, 18
	v_sub_nc_u32_e32 v4, v0, v3
	v_add_nc_u32_e32 v9, 14, v4
	v_add_nc_u32_e32 v11, 28, v4
	v_sub_nc_u32_e32 v0, v1, v7
	s_waitcnt lgkmcnt(0)
	v_mul_lo_u32 v8, s0, v13
	v_mul_lo_u32 v10, s1, v12
	v_mad_u64_u32 v[2:3], null, s0, v12, v[5:6]
	v_cmp_gt_u64_e32 vcc_lo, s[4:5], v[12:13]
	v_cmp_le_u64_e64 s0, s[4:5], v[12:13]
	v_add3_u32 v3, v10, v3, v8
	v_add_nc_u32_e32 v8, 42, v4
	s_and_saveexec_b32 s1, s0
	s_xor_b32 s0, exec_lo, s1
; %bb.9:
	v_add_nc_u32_e32 v9, 14, v4
	v_add_nc_u32_e32 v11, 28, v4
	;; [unrolled: 1-line block ×3, first 2 shown]
; %bb.10:
	s_or_saveexec_b32 s1, s0
	v_mul_u32_u24_e32 v0, 0x63, v0
	v_lshlrev_b64 v[6:7], 3, v[2:3]
	v_lshlrev_b32_e32 v10, 3, v4
	v_lshlrev_b32_e32 v16, 3, v0
	s_xor_b32 exec_lo, exec_lo, s1
	s_cbranch_execz .LBB0_12
; %bb.11:
	v_mov_b32_e32 v5, 0
	v_add_co_u32 v2, s0, s2, v6
	v_add_co_ci_u32_e64 v3, s0, s3, v7, s0
	v_lshlrev_b64 v[0:1], 3, v[4:5]
	v_add3_u32 v5, 0, v16, v10
	v_add_co_u32 v0, s0, v2, v0
	v_add_co_ci_u32_e64 v1, s0, v3, v1, s0
	s_clause 0x6
	global_load_dwordx2 v[2:3], v[0:1], off
	global_load_dwordx2 v[12:13], v[0:1], off offset:112
	global_load_dwordx2 v[14:15], v[0:1], off offset:224
	;; [unrolled: 1-line block ×6, first 2 shown]
	s_waitcnt vmcnt(5)
	ds_write2_b64 v5, v[2:3], v[12:13] offset1:14
	s_waitcnt vmcnt(3)
	ds_write2_b64 v5, v[14:15], v[17:18] offset0:28 offset1:42
	s_waitcnt vmcnt(1)
	ds_write2_b64 v5, v[19:20], v[21:22] offset0:56 offset1:70
	s_waitcnt vmcnt(0)
	ds_write_b64 v5, v[0:1] offset:672
.LBB0_12:
	s_or_b32 exec_lo, exec_lo, s1
	v_add_nc_u32_e32 v15, 0, v16
	v_add3_u32 v5, 0, v10, v16
	s_waitcnt lgkmcnt(0)
	s_barrier
	buffer_gl0_inv
	v_add_nc_u32_e32 v14, v15, v10
	v_lshl_add_u32 v17, v9, 4, 0
	ds_read2_b64 v[19:22], v5 offset0:14 offset1:28
	ds_read2_b64 v[23:26], v5 offset0:63 offset1:77
	;; [unrolled: 1-line block ×3, first 2 shown]
	ds_read_b64 v[27:28], v14
	ds_read_b64 v[12:13], v5 offset:728
	v_lshl_add_u32 v18, v11, 4, 0
	v_cmp_gt_u32_e64 s0, 7, v4
	v_add_nc_u32_e32 v29, v5, v10
	v_add_nc_u32_e32 v30, v17, v16
	s_waitcnt lgkmcnt(0)
	v_add_nc_u32_e32 v31, v18, v16
	s_barrier
	buffer_gl0_inv
	v_sub_f32_e32 v23, v19, v23
	v_sub_f32_e32 v24, v20, v24
	;; [unrolled: 1-line block ×6, first 2 shown]
	v_fma_f32 v19, v19, 2.0, -v23
	v_fma_f32 v27, v27, 2.0, -v2
	;; [unrolled: 1-line block ×6, first 2 shown]
	ds_write2_b64 v29, v[27:28], v[2:3] offset1:1
	ds_write2_b64 v30, v[19:20], v[23:24] offset1:1
	;; [unrolled: 1-line block ×3, first 2 shown]
	s_and_saveexec_b32 s1, s0
	s_cbranch_execz .LBB0_14
; %bb.13:
	v_sub_f32_e32 v3, v1, v13
	v_sub_f32_e32 v2, v0, v12
	v_lshlrev_b32_e32 v12, 4, v8
	v_fma_f32 v1, v1, 2.0, -v3
	v_fma_f32 v0, v0, 2.0, -v2
	v_add3_u32 v12, 0, v12, v16
	ds_write2_b64 v12, v[0:1], v[2:3] offset1:1
.LBB0_14:
	s_or_b32 exec_lo, exec_lo, s1
	v_and_b32_e32 v33, 1, v4
	s_waitcnt lgkmcnt(0)
	s_barrier
	buffer_gl0_inv
	v_lshlrev_b32_e32 v13, 3, v11
	v_mul_u32_u24_e32 v0, 6, v33
	v_lshrrev_b32_e32 v27, 1, v4
	v_mul_u32_u24_e32 v40, 6, v4
	s_mov_b32 s4, exec_lo
	v_sub_nc_u32_e32 v13, v18, v13
	v_lshlrev_b32_e32 v12, 3, v0
	v_mul_u32_u24_e32 v34, 14, v27
	v_lshlrev_b32_e32 v40, 3, v40
	s_clause 0x2
	global_load_dwordx4 v[0:3], v12, s[8:9]
	global_load_dwordx4 v[19:22], v12, s[8:9] offset:16
	global_load_dwordx4 v[23:26], v12, s[8:9] offset:32
	v_lshlrev_b32_e32 v12, 3, v9
	v_add_nc_u32_e32 v38, v13, v16
	v_or_b32_e32 v35, v34, v33
	v_sub_nc_u32_e32 v12, v17, v12
	v_lshlrev_b32_e32 v17, 3, v8
	v_lshlrev_b32_e32 v41, 3, v35
	v_add_nc_u32_e32 v37, v12, v16
	v_add3_u32 v39, 0, v17, v16
	v_add3_u32 v41, 0, v41, v16
	ds_read_b64 v[12:13], v37
	ds_read_b64 v[17:18], v38
	;; [unrolled: 1-line block ×3, first 2 shown]
	ds_read2_b64 v[27:30], v5 offset0:56 offset1:70
	ds_read_b64 v[33:34], v5 offset:672
	ds_read_b64 v[35:36], v14
	s_waitcnt vmcnt(0) lgkmcnt(0)
	s_barrier
	buffer_gl0_inv
	v_mul_f32_e32 v16, v1, v13
	v_mul_f32_e32 v1, v1, v12
	;; [unrolled: 1-line block ×12, first 2 shown]
	v_fmac_f32_e32 v16, v0, v12
	v_fma_f32 v0, v0, v13, -v1
	v_fmac_f32_e32 v42, v2, v17
	v_fma_f32 v1, v2, v18, -v3
	;; [unrolled: 2-line block ×6, first 2 shown]
	v_add_f32_e32 v17, v16, v46
	v_add_f32_e32 v18, v0, v3
	v_sub_f32_e32 v0, v0, v3
	v_add_f32_e32 v3, v42, v45
	v_add_f32_e32 v19, v1, v13
	v_sub_f32_e32 v20, v42, v45
	v_sub_f32_e32 v1, v1, v13
	v_add_f32_e32 v13, v43, v44
	v_add_f32_e32 v21, v2, v12
	v_sub_f32_e32 v22, v44, v43
	;; [unrolled: 4-line block ×3, first 2 shown]
	v_sub_f32_e32 v24, v3, v17
	v_sub_f32_e32 v25, v19, v18
	;; [unrolled: 1-line block ×6, first 2 shown]
	v_add_f32_e32 v26, v22, v20
	v_add_f32_e32 v27, v2, v1
	v_sub_f32_e32 v28, v22, v20
	v_sub_f32_e32 v29, v2, v1
	;; [unrolled: 1-line block ×3, first 2 shown]
	v_add_f32_e32 v12, v13, v12
	v_add_f32_e32 v13, v21, v23
	v_sub_f32_e32 v20, v20, v16
	v_sub_f32_e32 v22, v16, v22
	;; [unrolled: 1-line block ×3, first 2 shown]
	v_add_f32_e32 v16, v26, v16
	v_add_f32_e32 v21, v27, v0
	v_mul_f32_e32 v17, 0x3f4a47b2, v17
	v_mul_f32_e32 v18, 0x3f4a47b2, v18
	;; [unrolled: 1-line block ×7, first 2 shown]
	v_add_f32_e32 v0, v12, v35
	v_add_f32_e32 v1, v13, v36
	v_mul_f32_e32 v29, 0xbf5ff5aa, v20
	v_fmamk_f32 v3, v3, 0x3d64c772, v17
	v_fmamk_f32 v19, v19, 0x3d64c772, v18
	v_fma_f32 v23, 0x3f3bfb3b, v24, -v23
	v_fma_f32 v26, 0x3f3bfb3b, v25, -v26
	;; [unrolled: 1-line block ×4, first 2 shown]
	v_fmamk_f32 v24, v22, 0xbeae86e6, v27
	v_fmamk_f32 v25, v2, 0xbeae86e6, v28
	v_fma_f32 v20, 0xbf5ff5aa, v20, -v27
	v_fma_f32 v27, 0xbf5ff5aa, v30, -v28
	;; [unrolled: 1-line block ×3, first 2 shown]
	v_fmamk_f32 v2, v12, 0xbf955555, v0
	v_fmamk_f32 v12, v13, 0xbf955555, v1
	v_fma_f32 v22, 0x3eae86e6, v22, -v29
	v_fmac_f32_e32 v24, 0xbee1c552, v16
	v_fmac_f32_e32 v25, 0xbee1c552, v21
	v_add_f32_e32 v29, v3, v2
	v_add_f32_e32 v30, v19, v12
	v_fmac_f32_e32 v20, 0xbee1c552, v16
	v_fmac_f32_e32 v27, 0xbee1c552, v21
	v_fmac_f32_e32 v22, 0xbee1c552, v16
	v_fmac_f32_e32 v28, 0xbee1c552, v21
	v_add_f32_e32 v19, v23, v2
	v_add_f32_e32 v21, v17, v2
	;; [unrolled: 1-line block ×5, first 2 shown]
	v_sub_f32_e32 v3, v30, v24
	v_add_f32_e32 v12, v28, v21
	v_sub_f32_e32 v13, v23, v22
	v_sub_f32_e32 v16, v19, v27
	v_add_f32_e32 v17, v20, v26
	v_add_f32_e32 v18, v27, v19
	v_sub_f32_e32 v19, v26, v20
	v_sub_f32_e32 v20, v21, v28
	v_add_f32_e32 v21, v22, v23
	v_sub_f32_e32 v22, v29, v25
	v_add_f32_e32 v23, v24, v30
	ds_write2_b64 v41, v[0:1], v[2:3] offset1:2
	ds_write2_b64 v41, v[12:13], v[16:17] offset0:4 offset1:6
	ds_write2_b64 v41, v[18:19], v[20:21] offset0:8 offset1:10
	ds_write_b64 v41, v[22:23] offset:96
	s_waitcnt lgkmcnt(0)
	s_barrier
	buffer_gl0_inv
	s_clause 0x2
	global_load_dwordx4 v[0:3], v40, s[8:9] offset:96
	global_load_dwordx4 v[16:19], v40, s[8:9] offset:112
	;; [unrolled: 1-line block ×3, first 2 shown]
	ds_read_b64 v[12:13], v37
	ds_read_b64 v[28:29], v38
	;; [unrolled: 1-line block ×3, first 2 shown]
	ds_read2_b64 v[24:27], v5 offset0:56 offset1:70
	ds_read_b64 v[32:33], v5 offset:672
	ds_read_b64 v[34:35], v14
	s_waitcnt vmcnt(0) lgkmcnt(0)
	s_barrier
	buffer_gl0_inv
	v_mul_f32_e32 v36, v1, v13
	v_mul_f32_e32 v1, v1, v12
	;; [unrolled: 1-line block ×12, first 2 shown]
	v_fmac_f32_e32 v36, v0, v12
	v_fma_f32 v0, v0, v13, -v1
	v_fmac_f32_e32 v37, v2, v28
	v_fma_f32 v1, v2, v29, -v3
	;; [unrolled: 2-line block ×6, first 2 shown]
	v_add_f32_e32 v16, v36, v41
	v_add_f32_e32 v17, v0, v3
	v_sub_f32_e32 v0, v0, v3
	v_add_f32_e32 v3, v37, v40
	v_add_f32_e32 v19, v1, v13
	v_sub_f32_e32 v20, v37, v40
	v_sub_f32_e32 v1, v1, v13
	v_add_f32_e32 v13, v38, v39
	v_add_f32_e32 v21, v2, v12
	v_sub_f32_e32 v22, v39, v38
	;; [unrolled: 4-line block ×3, first 2 shown]
	v_sub_f32_e32 v24, v3, v16
	v_sub_f32_e32 v25, v19, v17
	;; [unrolled: 1-line block ×6, first 2 shown]
	v_add_f32_e32 v26, v22, v20
	v_add_f32_e32 v27, v2, v1
	v_sub_f32_e32 v28, v22, v20
	v_sub_f32_e32 v29, v2, v1
	;; [unrolled: 1-line block ×3, first 2 shown]
	v_add_f32_e32 v12, v13, v12
	v_add_f32_e32 v13, v21, v23
	v_sub_f32_e32 v20, v20, v18
	v_sub_f32_e32 v22, v18, v22
	;; [unrolled: 1-line block ×3, first 2 shown]
	v_add_f32_e32 v18, v26, v18
	v_add_f32_e32 v21, v27, v0
	v_mul_f32_e32 v16, 0x3f4a47b2, v16
	v_mul_f32_e32 v17, 0x3f4a47b2, v17
	;; [unrolled: 1-line block ×7, first 2 shown]
	v_add_f32_e32 v0, v12, v34
	v_add_f32_e32 v1, v13, v35
	v_mul_f32_e32 v29, 0xbf5ff5aa, v20
	v_fmamk_f32 v3, v3, 0x3d64c772, v16
	v_fmamk_f32 v19, v19, 0x3d64c772, v17
	v_fma_f32 v23, 0x3f3bfb3b, v24, -v23
	v_fma_f32 v26, 0x3f3bfb3b, v25, -v26
	;; [unrolled: 1-line block ×4, first 2 shown]
	v_fmamk_f32 v24, v22, 0xbeae86e6, v27
	v_fmamk_f32 v25, v2, 0xbeae86e6, v28
	v_fma_f32 v20, 0xbf5ff5aa, v20, -v27
	v_fma_f32 v27, 0xbf5ff5aa, v30, -v28
	;; [unrolled: 1-line block ×3, first 2 shown]
	v_fmamk_f32 v2, v12, 0xbf955555, v0
	v_fmamk_f32 v12, v13, 0xbf955555, v1
	v_fma_f32 v22, 0x3eae86e6, v22, -v29
	v_fmac_f32_e32 v24, 0xbee1c552, v18
	v_fmac_f32_e32 v25, 0xbee1c552, v21
	v_add_f32_e32 v29, v3, v2
	v_add_f32_e32 v30, v19, v12
	v_fmac_f32_e32 v20, 0xbee1c552, v18
	v_fmac_f32_e32 v27, 0xbee1c552, v21
	;; [unrolled: 1-line block ×4, first 2 shown]
	v_add_f32_e32 v18, v23, v2
	v_add_f32_e32 v21, v16, v2
	;; [unrolled: 1-line block ×5, first 2 shown]
	v_sub_f32_e32 v3, v30, v24
	v_add_f32_e32 v12, v28, v21
	v_sub_f32_e32 v13, v23, v22
	v_sub_f32_e32 v16, v18, v27
	v_add_f32_e32 v17, v20, v19
	v_add_f32_e32 v18, v27, v18
	v_sub_f32_e32 v19, v19, v20
	v_sub_f32_e32 v20, v21, v28
	v_add_f32_e32 v21, v22, v23
	v_sub_f32_e32 v22, v29, v25
	v_add_f32_e32 v23, v24, v30
	ds_write2_b64 v5, v[0:1], v[2:3] offset1:14
	ds_write2_b64 v5, v[12:13], v[16:17] offset0:28 offset1:42
	ds_write2_b64 v5, v[18:19], v[20:21] offset0:56 offset1:70
	ds_write_b64 v5, v[22:23] offset:672
	s_waitcnt lgkmcnt(0)
	s_barrier
	buffer_gl0_inv
	ds_read_b64 v[2:3], v14
	v_sub_nc_u32_e32 v13, v15, v10
                                        ; implicit-def: $vgpr1
                                        ; implicit-def: $vgpr5
	v_cmpx_ne_u32_e32 0, v4
	s_xor_b32 s4, exec_lo, s4
	s_cbranch_execz .LBB0_16
; %bb.15:
	v_mov_b32_e32 v5, 0
	v_lshlrev_b64 v[0:1], 3, v[4:5]
	v_add_co_u32 v0, s1, s8, v0
	v_add_co_ci_u32_e64 v1, s1, s9, v1, s1
	global_load_dwordx2 v[16:17], v[0:1], off offset:768
	ds_read_b64 v[0:1], v13 offset:784
	s_waitcnt lgkmcnt(0)
	v_sub_f32_e32 v5, v2, v0
	v_add_f32_e32 v10, v1, v3
	v_sub_f32_e32 v1, v3, v1
	v_add_f32_e32 v0, v0, v2
	v_mul_f32_e32 v3, 0.5, v5
	v_mul_f32_e32 v2, 0.5, v10
	;; [unrolled: 1-line block ×3, first 2 shown]
	s_waitcnt vmcnt(0)
	v_mul_f32_e32 v5, v17, v3
	v_fma_f32 v10, v2, v17, v1
	v_fma_f32 v1, v2, v17, -v1
	v_fma_f32 v12, 0.5, v0, v5
	v_fma_f32 v0, v0, 0.5, -v5
	v_fma_f32 v5, -v16, v3, v10
	v_fma_f32 v1, -v16, v3, v1
	v_fmac_f32_e32 v12, v16, v2
	v_fma_f32 v0, -v16, v2, v0
                                        ; implicit-def: $vgpr2_vgpr3
	ds_write_b32 v14, v12
.LBB0_16:
	s_andn2_saveexec_b32 s1, s4
	s_cbranch_execz .LBB0_18
; %bb.17:
	ds_read_b32 v1, v15 offset:396
	v_mov_b32_e32 v5, 0
	s_waitcnt lgkmcnt(1)
	v_add_f32_e32 v10, v2, v3
	v_sub_f32_e32 v0, v2, v3
	s_waitcnt lgkmcnt(0)
	v_xor_b32_e32 v2, 0x80000000, v1
	v_mov_b32_e32 v1, v5
	ds_write_b32 v14, v10
	ds_write_b32 v15, v2 offset:396
.LBB0_18:
	s_or_b32 exec_lo, exec_lo, s1
	v_mov_b32_e32 v10, 0
	s_waitcnt lgkmcnt(0)
	v_lshlrev_b64 v[2:3], 3, v[9:10]
	v_mov_b32_e32 v12, v10
	v_lshl_add_u32 v9, v9, 3, v15
	v_lshlrev_b64 v[16:17], 3, v[11:12]
	v_add_co_u32 v2, s1, s8, v2
	v_add_co_ci_u32_e64 v3, s1, s9, v3, s1
	v_add_co_u32 v16, s1, s8, v16
	global_load_dwordx2 v[2:3], v[2:3], off offset:768
	v_add_co_ci_u32_e64 v17, s1, s9, v17, s1
	global_load_dwordx2 v[16:17], v[16:17], off offset:768
	ds_write_b32 v14, v5 offset:4
	ds_write_b64 v13, v[0:1] offset:784
	ds_read_b64 v[0:1], v9
	ds_read_b64 v[18:19], v13 offset:672
	s_waitcnt lgkmcnt(0)
	v_sub_f32_e32 v5, v0, v18
	v_add_f32_e32 v12, v1, v19
	v_sub_f32_e32 v1, v1, v19
	v_add_f32_e32 v18, v0, v18
	v_mul_f32_e32 v5, 0.5, v5
	v_mul_f32_e32 v12, 0.5, v12
	;; [unrolled: 1-line block ×3, first 2 shown]
	s_waitcnt vmcnt(1)
	v_mul_f32_e32 v19, v3, v5
	v_fma_f32 v20, v12, v3, v1
	v_fma_f32 v3, v12, v3, -v1
	v_fma_f32 v0, 0.5, v18, v19
	v_fma_f32 v18, v18, 0.5, -v19
	v_fma_f32 v1, -v2, v5, v20
	v_fma_f32 v3, -v2, v5, v3
	v_lshl_add_u32 v5, v11, 3, v15
	v_fmac_f32_e32 v0, v2, v12
	v_fma_f32 v2, -v2, v12, v18
	ds_write_b64 v9, v[0:1]
	ds_write_b64 v13, v[2:3] offset:672
	ds_read_b64 v[0:1], v5
	ds_read_b64 v[2:3], v13 offset:560
	s_waitcnt lgkmcnt(0)
	v_sub_f32_e32 v9, v0, v2
	v_add_f32_e32 v11, v1, v3
	v_sub_f32_e32 v1, v1, v3
	v_add_f32_e32 v2, v0, v2
	v_mul_f32_e32 v3, 0.5, v9
	v_mul_f32_e32 v9, 0.5, v11
	;; [unrolled: 1-line block ×3, first 2 shown]
	s_waitcnt vmcnt(0)
	v_mul_f32_e32 v11, v17, v3
	v_fma_f32 v12, v9, v17, v1
	v_fma_f32 v17, v9, v17, -v1
	v_fma_f32 v0, 0.5, v2, v11
	v_fma_f32 v2, v2, 0.5, -v11
	v_fma_f32 v1, -v16, v3, v12
	v_fma_f32 v3, -v16, v3, v17
	v_fmac_f32_e32 v0, v16, v9
	v_fma_f32 v2, -v16, v9, v2
	ds_write_b64 v5, v[0:1]
	ds_write_b64 v13, v[2:3] offset:560
	s_and_saveexec_b32 s1, s0
	s_cbranch_execz .LBB0_20
; %bb.19:
	v_mov_b32_e32 v9, v10
	v_lshl_add_u32 v5, v8, 3, v15
	v_lshlrev_b64 v[0:1], 3, v[8:9]
	v_add_co_u32 v0, s0, s8, v0
	v_add_co_ci_u32_e64 v1, s0, s9, v1, s0
	global_load_dwordx2 v[0:1], v[0:1], off offset:768
	ds_read_b64 v[2:3], v5
	ds_read_b64 v[8:9], v13 offset:448
	s_waitcnt lgkmcnt(0)
	v_sub_f32_e32 v10, v2, v8
	v_add_f32_e32 v11, v3, v9
	v_sub_f32_e32 v3, v3, v9
	v_add_f32_e32 v2, v2, v8
	v_mul_f32_e32 v9, 0.5, v10
	v_mul_f32_e32 v10, 0.5, v11
	;; [unrolled: 1-line block ×3, first 2 shown]
	s_waitcnt vmcnt(0)
	v_mul_f32_e32 v8, v1, v9
	v_fma_f32 v11, v10, v1, v3
	v_fma_f32 v3, v10, v1, -v3
	v_fma_f32 v1, 0.5, v2, v8
	v_fma_f32 v8, v2, 0.5, -v8
	v_fma_f32 v2, -v0, v9, v11
	v_fma_f32 v9, -v0, v9, v3
	v_fmac_f32_e32 v1, v0, v10
	v_fma_f32 v8, -v0, v10, v8
	ds_write_b64 v5, v[1:2]
	ds_write_b64 v13, v[8:9] offset:448
.LBB0_20:
	s_or_b32 exec_lo, exec_lo, s1
	s_waitcnt lgkmcnt(0)
	s_barrier
	buffer_gl0_inv
	s_and_saveexec_b32 s0, vcc_lo
	s_cbranch_execz .LBB0_23
; %bb.21:
	ds_read2_b64 v[8:11], v14 offset1:14
	ds_read2_b64 v[15:18], v14 offset0:28 offset1:42
	ds_read2_b64 v[19:22], v14 offset0:56 offset1:70
	ds_read_b64 v[2:3], v14 offset:672
	v_mov_b32_e32 v5, 0
	v_add_co_u32 v0, vcc_lo, s2, v6
	v_add_co_ci_u32_e32 v1, vcc_lo, s3, v7, vcc_lo
	v_lshlrev_b64 v[12:13], 3, v[4:5]
	v_add_co_u32 v5, vcc_lo, v0, v12
	v_add_co_ci_u32_e32 v6, vcc_lo, v1, v13, vcc_lo
	v_cmp_eq_u32_e32 vcc_lo, 13, v4
	s_waitcnt lgkmcnt(3)
	global_store_dwordx2 v[5:6], v[8:9], off
	global_store_dwordx2 v[5:6], v[10:11], off offset:112
	s_waitcnt lgkmcnt(2)
	global_store_dwordx2 v[5:6], v[15:16], off offset:224
	global_store_dwordx2 v[5:6], v[17:18], off offset:336
	s_waitcnt lgkmcnt(1)
	global_store_dwordx2 v[5:6], v[19:20], off offset:448
	;; [unrolled: 3-line block ×3, first 2 shown]
	s_and_b32 exec_lo, exec_lo, vcc_lo
	s_cbranch_execz .LBB0_23
; %bb.22:
	ds_read_b64 v[2:3], v14 offset:680
	s_waitcnt lgkmcnt(0)
	global_store_dwordx2 v[0:1], v[2:3], off offset:784
.LBB0_23:
	s_endpgm
	.section	.rodata,"a",@progbits
	.p2align	6, 0x0
	.amdhsa_kernel fft_rtc_back_len98_factors_2_7_7_wgs_252_tpt_14_sp_ip_CI_unitstride_sbrr_R2C_dirReg
		.amdhsa_group_segment_fixed_size 0
		.amdhsa_private_segment_fixed_size 0
		.amdhsa_kernarg_size 88
		.amdhsa_user_sgpr_count 6
		.amdhsa_user_sgpr_private_segment_buffer 1
		.amdhsa_user_sgpr_dispatch_ptr 0
		.amdhsa_user_sgpr_queue_ptr 0
		.amdhsa_user_sgpr_kernarg_segment_ptr 1
		.amdhsa_user_sgpr_dispatch_id 0
		.amdhsa_user_sgpr_flat_scratch_init 0
		.amdhsa_user_sgpr_private_segment_size 0
		.amdhsa_wavefront_size32 1
		.amdhsa_uses_dynamic_stack 0
		.amdhsa_system_sgpr_private_segment_wavefront_offset 0
		.amdhsa_system_sgpr_workgroup_id_x 1
		.amdhsa_system_sgpr_workgroup_id_y 0
		.amdhsa_system_sgpr_workgroup_id_z 0
		.amdhsa_system_sgpr_workgroup_info 0
		.amdhsa_system_vgpr_workitem_id 0
		.amdhsa_next_free_vgpr 47
		.amdhsa_next_free_sgpr 21
		.amdhsa_reserve_vcc 1
		.amdhsa_reserve_flat_scratch 0
		.amdhsa_float_round_mode_32 0
		.amdhsa_float_round_mode_16_64 0
		.amdhsa_float_denorm_mode_32 3
		.amdhsa_float_denorm_mode_16_64 3
		.amdhsa_dx10_clamp 1
		.amdhsa_ieee_mode 1
		.amdhsa_fp16_overflow 0
		.amdhsa_workgroup_processor_mode 1
		.amdhsa_memory_ordered 1
		.amdhsa_forward_progress 0
		.amdhsa_shared_vgpr_count 0
		.amdhsa_exception_fp_ieee_invalid_op 0
		.amdhsa_exception_fp_denorm_src 0
		.amdhsa_exception_fp_ieee_div_zero 0
		.amdhsa_exception_fp_ieee_overflow 0
		.amdhsa_exception_fp_ieee_underflow 0
		.amdhsa_exception_fp_ieee_inexact 0
		.amdhsa_exception_int_div_zero 0
	.end_amdhsa_kernel
	.text
.Lfunc_end0:
	.size	fft_rtc_back_len98_factors_2_7_7_wgs_252_tpt_14_sp_ip_CI_unitstride_sbrr_R2C_dirReg, .Lfunc_end0-fft_rtc_back_len98_factors_2_7_7_wgs_252_tpt_14_sp_ip_CI_unitstride_sbrr_R2C_dirReg
                                        ; -- End function
	.section	.AMDGPU.csdata,"",@progbits
; Kernel info:
; codeLenInByte = 4236
; NumSgprs: 23
; NumVgprs: 47
; ScratchSize: 0
; MemoryBound: 0
; FloatMode: 240
; IeeeMode: 1
; LDSByteSize: 0 bytes/workgroup (compile time only)
; SGPRBlocks: 2
; VGPRBlocks: 5
; NumSGPRsForWavesPerEU: 23
; NumVGPRsForWavesPerEU: 47
; Occupancy: 16
; WaveLimiterHint : 1
; COMPUTE_PGM_RSRC2:SCRATCH_EN: 0
; COMPUTE_PGM_RSRC2:USER_SGPR: 6
; COMPUTE_PGM_RSRC2:TRAP_HANDLER: 0
; COMPUTE_PGM_RSRC2:TGID_X_EN: 1
; COMPUTE_PGM_RSRC2:TGID_Y_EN: 0
; COMPUTE_PGM_RSRC2:TGID_Z_EN: 0
; COMPUTE_PGM_RSRC2:TIDIG_COMP_CNT: 0
	.text
	.p2alignl 6, 3214868480
	.fill 48, 4, 3214868480
	.type	__hip_cuid_5dd1ed10e012ae07,@object ; @__hip_cuid_5dd1ed10e012ae07
	.section	.bss,"aw",@nobits
	.globl	__hip_cuid_5dd1ed10e012ae07
__hip_cuid_5dd1ed10e012ae07:
	.byte	0                               ; 0x0
	.size	__hip_cuid_5dd1ed10e012ae07, 1

	.ident	"AMD clang version 19.0.0git (https://github.com/RadeonOpenCompute/llvm-project roc-6.4.0 25133 c7fe45cf4b819c5991fe208aaa96edf142730f1d)"
	.section	".note.GNU-stack","",@progbits
	.addrsig
	.addrsig_sym __hip_cuid_5dd1ed10e012ae07
	.amdgpu_metadata
---
amdhsa.kernels:
  - .args:
      - .actual_access:  read_only
        .address_space:  global
        .offset:         0
        .size:           8
        .value_kind:     global_buffer
      - .offset:         8
        .size:           8
        .value_kind:     by_value
      - .actual_access:  read_only
        .address_space:  global
        .offset:         16
        .size:           8
        .value_kind:     global_buffer
      - .actual_access:  read_only
        .address_space:  global
        .offset:         24
        .size:           8
        .value_kind:     global_buffer
      - .offset:         32
        .size:           8
        .value_kind:     by_value
      - .actual_access:  read_only
        .address_space:  global
        .offset:         40
        .size:           8
        .value_kind:     global_buffer
      - .actual_access:  read_only
        .address_space:  global
        .offset:         48
        .size:           8
        .value_kind:     global_buffer
      - .offset:         56
        .size:           4
        .value_kind:     by_value
      - .actual_access:  read_only
        .address_space:  global
        .offset:         64
        .size:           8
        .value_kind:     global_buffer
      - .actual_access:  read_only
        .address_space:  global
        .offset:         72
        .size:           8
        .value_kind:     global_buffer
      - .address_space:  global
        .offset:         80
        .size:           8
        .value_kind:     global_buffer
    .group_segment_fixed_size: 0
    .kernarg_segment_align: 8
    .kernarg_segment_size: 88
    .language:       OpenCL C
    .language_version:
      - 2
      - 0
    .max_flat_workgroup_size: 252
    .name:           fft_rtc_back_len98_factors_2_7_7_wgs_252_tpt_14_sp_ip_CI_unitstride_sbrr_R2C_dirReg
    .private_segment_fixed_size: 0
    .sgpr_count:     23
    .sgpr_spill_count: 0
    .symbol:         fft_rtc_back_len98_factors_2_7_7_wgs_252_tpt_14_sp_ip_CI_unitstride_sbrr_R2C_dirReg.kd
    .uniform_work_group_size: 1
    .uses_dynamic_stack: false
    .vgpr_count:     47
    .vgpr_spill_count: 0
    .wavefront_size: 32
    .workgroup_processor_mode: 1
amdhsa.target:   amdgcn-amd-amdhsa--gfx1030
amdhsa.version:
  - 1
  - 2
...

	.end_amdgpu_metadata
